;; amdgpu-corpus repo=ROCm/rocFFT kind=compiled arch=gfx906 opt=O3
	.text
	.amdgcn_target "amdgcn-amd-amdhsa--gfx906"
	.amdhsa_code_object_version 6
	.protected	fft_rtc_fwd_len108_factors_9_4_3_wgs_192_tpt_12_halfLds_dim1_sp_op_CI_CI_unitstride_sbrr_R2C_dirReg ; -- Begin function fft_rtc_fwd_len108_factors_9_4_3_wgs_192_tpt_12_halfLds_dim1_sp_op_CI_CI_unitstride_sbrr_R2C_dirReg
	.globl	fft_rtc_fwd_len108_factors_9_4_3_wgs_192_tpt_12_halfLds_dim1_sp_op_CI_CI_unitstride_sbrr_R2C_dirReg
	.p2align	8
	.type	fft_rtc_fwd_len108_factors_9_4_3_wgs_192_tpt_12_halfLds_dim1_sp_op_CI_CI_unitstride_sbrr_R2C_dirReg,@function
fft_rtc_fwd_len108_factors_9_4_3_wgs_192_tpt_12_halfLds_dim1_sp_op_CI_CI_unitstride_sbrr_R2C_dirReg: ; @fft_rtc_fwd_len108_factors_9_4_3_wgs_192_tpt_12_halfLds_dim1_sp_op_CI_CI_unitstride_sbrr_R2C_dirReg
; %bb.0:
	s_load_dwordx2 s[0:1], s[4:5], 0x20
	v_mul_u32_u24_e32 v2, 0x1556, v0
	v_lshrrev_b32_e32 v1, 16, v2
	v_lshl_add_u32 v18, s6, 4, v1
	v_mov_b32_e32 v19, 0
	s_waitcnt lgkmcnt(0)
	v_cmp_gt_u64_e32 vcc, s[0:1], v[18:19]
	v_cmp_le_u64_e64 s[0:1], s[0:1], v[18:19]
	s_movk_i32 s2, 0x1556
	v_bfe_u32 v2, v2, 16, 4
                                        ; implicit-def: $vgpr17
                                        ; implicit-def: $vgpr16
                                        ; implicit-def: $vgpr20
                                        ; implicit-def: $vgpr19
	s_and_saveexec_b64 s[6:7], s[0:1]
	s_xor_b64 s[0:1], exec, s[6:7]
; %bb.1:
	v_mul_u32_u24_sdwa v1, v0, s2 dst_sel:DWORD dst_unused:UNUSED_PAD src0_sel:WORD_0 src1_sel:DWORD
	v_mov_b32_e32 v3, 12
	v_mul_lo_u16_sdwa v1, v1, v3 dst_sel:DWORD dst_unused:UNUSED_PAD src0_sel:WORD_1 src1_sel:DWORD
	v_sub_u16_e32 v16, v0, v1
	v_sub_u16_e32 v17, v0, v1
	v_add_u32_e32 v20, 12, v16
	v_add_u32_e32 v19, 24, v16
                                        ; implicit-def: $vgpr1
                                        ; implicit-def: $vgpr0
; %bb.2:
	s_or_saveexec_b64 s[2:3], s[0:1]
	s_load_dwordx2 s[6:7], s[4:5], 0x18
	s_load_dwordx2 s[8:9], s[4:5], 0x0
	v_mul_u32_u24_e32 v2, 0x6d, v2
	v_lshlrev_b32_e32 v35, 3, v2
	s_xor_b64 exec, exec, s[2:3]
	s_cbranch_execz .LBB0_4
; %bb.3:
	s_load_dwordx2 s[0:1], s[4:5], 0x10
	s_load_dwordx2 s[10:11], s[4:5], 0x50
	v_mul_lo_u16_e32 v15, 12, v1
	v_sub_u16_e32 v16, v0, v15
	v_lshlrev_b32_e32 v27, 3, v16
	s_waitcnt lgkmcnt(0)
	s_load_dwordx2 s[0:1], s[0:1], 0x8
	v_sub_u16_e32 v17, v0, v15
	v_add_u32_e32 v20, 12, v16
	v_add_u32_e32 v19, 24, v16
	v_add3_u32 v0, 0, v35, v27
	s_waitcnt lgkmcnt(0)
	v_mad_u64_u32 v[2:3], s[12:13], s0, v18, 0
	v_mov_b32_e32 v1, v3
	v_mad_u64_u32 v[3:4], s[0:1], s1, v18, v[1:2]
	v_mov_b32_e32 v4, s11
	v_lshlrev_b64 v[1:2], 3, v[2:3]
	v_add_co_u32_e64 v1, s[0:1], s10, v1
	v_addc_co_u32_e64 v2, s[0:1], v4, v2, s[0:1]
	v_add_co_u32_e64 v1, s[0:1], v1, v27
	v_addc_co_u32_e64 v2, s[0:1], 0, v2, s[0:1]
	global_load_dwordx2 v[3:4], v[1:2], off
	global_load_dwordx2 v[5:6], v[1:2], off offset:96
	global_load_dwordx2 v[7:8], v[1:2], off offset:192
	global_load_dwordx2 v[9:10], v[1:2], off offset:288
	global_load_dwordx2 v[11:12], v[1:2], off offset:384
	global_load_dwordx2 v[13:14], v[1:2], off offset:480
	global_load_dwordx2 v[21:22], v[1:2], off offset:576
	global_load_dwordx2 v[23:24], v[1:2], off offset:672
	global_load_dwordx2 v[25:26], v[1:2], off offset:768
	s_waitcnt vmcnt(7)
	ds_write2_b64 v0, v[3:4], v[5:6] offset1:12
	s_waitcnt vmcnt(5)
	ds_write2_b64 v0, v[7:8], v[9:10] offset0:24 offset1:36
	s_waitcnt vmcnt(3)
	ds_write2_b64 v0, v[11:12], v[13:14] offset0:48 offset1:60
	;; [unrolled: 2-line block ×3, first 2 shown]
	s_waitcnt vmcnt(0)
	ds_write_b64 v0, v[25:26] offset:768
.LBB0_4:
	s_or_b64 exec, exec, s[2:3]
	v_lshlrev_b32_e32 v33, 3, v16
	v_add3_u32 v34, 0, v33, v35
	s_waitcnt lgkmcnt(0)
	s_load_dwordx2 s[6:7], s[6:7], 0x8
	s_waitcnt lgkmcnt(0)
	s_barrier
	ds_read2_b64 v[0:3], v34 offset0:12 offset1:24
	ds_read2_b64 v[4:7], v34 offset0:84 offset1:96
	;; [unrolled: 1-line block ×4, first 2 shown]
	v_add_u32_e32 v31, 0, v35
	v_add_u32_e32 v32, v31, v33
	s_mov_b32 s0, 0xbf248dbb
	s_waitcnt lgkmcnt(2)
	v_add_f32_e32 v23, v0, v6
	v_add_f32_e32 v25, v2, v4
	;; [unrolled: 1-line block ×4, first 2 shown]
	s_waitcnt lgkmcnt(0)
	v_add_f32_e32 v36, v8, v14
	v_add_f32_e32 v37, v25, v23
	v_sub_f32_e32 v27, v0, v6
	v_add_f32_e32 v0, v36, v37
	v_add_f32_e32 v38, v9, v15
	;; [unrolled: 1-line block ×3, first 2 shown]
	v_sub_f32_e32 v29, v2, v4
	v_add_f32_e32 v2, v10, v0
	v_add_f32_e32 v0, v38, v39
	v_sub_f32_e32 v28, v1, v7
	v_sub_f32_e32 v30, v3, v5
	v_add_f32_e32 v3, v11, v0
	ds_read_b64 v[0:1], v32
	v_sub_f32_e32 v8, v8, v14
	v_sub_f32_e32 v14, v10, v12
	;; [unrolled: 1-line block ×4, first 2 shown]
	v_add_f32_e32 v2, v12, v2
	v_add_f32_e32 v3, v13, v3
	v_mul_f32_e32 v6, 0x3f7c1c5c, v14
	v_add_f32_e32 v10, v10, v12
	v_add_f32_e32 v11, v11, v13
	s_waitcnt lgkmcnt(0)
	v_add_f32_e32 v2, v2, v0
	v_add_f32_e32 v3, v3, v1
	v_add_f32_e32 v4, v36, v0
	v_add_f32_e32 v5, v38, v1
	v_fma_f32 v7, v29, s0, -v6
	v_mul_f32_e32 v6, 0x3f7c1c5c, v15
	v_mov_b32_e32 v12, v0
	v_mov_b32_e32 v13, v0
	v_fmac_f32_e32 v0, 0x3f441b7d, v25
	v_mov_b32_e32 v21, v1
	v_mov_b32_e32 v40, v1
	v_fmac_f32_e32 v1, 0x3f441b7d, v26
	v_fma_f32 v6, v30, s0, -v6
	v_fmac_f32_e32 v0, 0x3e31d0d4, v10
	v_fmac_f32_e32 v1, 0x3e31d0d4, v11
	;; [unrolled: 1-line block ×4, first 2 shown]
	v_fmac_f32_e32 v0, -0.5, v36
	v_fmac_f32_e32 v1, -0.5, v38
	v_fmac_f32_e32 v7, 0x3eaf1d44, v27
	v_fmac_f32_e32 v6, 0x3eaf1d44, v28
	;; [unrolled: 1-line block ×4, first 2 shown]
	v_add_f32_e32 v0, v6, v0
	v_sub_f32_e32 v1, v1, v7
	v_fma_f32 v6, -2.0, v6, v0
	v_fma_f32 v7, 2.0, v7, v1
	v_lshl_add_u32 v41, v16, 6, v34
	s_barrier
	ds_write2_b64 v41, v[0:1], v[6:7] offset0:4 offset1:5
	v_mul_f32_e32 v6, 0x3f248dbb, v27
	v_mul_f32_e32 v7, 0x3f248dbb, v28
	v_fmac_f32_e32 v12, 0x3f441b7d, v23
	v_fmac_f32_e32 v21, 0x3f441b7d, v24
	;; [unrolled: 1-line block ×8, first 2 shown]
	v_fmac_f32_e32 v12, -0.5, v36
	v_fmac_f32_e32 v21, -0.5, v38
	v_fmac_f32_e32 v6, 0x3eaf1d44, v14
	v_fmac_f32_e32 v7, 0x3eaf1d44, v15
	;; [unrolled: 1-line block ×4, first 2 shown]
	v_add_f32_e32 v0, v7, v12
	v_sub_f32_e32 v1, v21, v6
	ds_write2_b64 v41, v[2:3], v[0:1] offset1:1
	v_mul_f32_e32 v3, 0xbf248dbb, v14
	v_mul_f32_e32 v2, 0xbf248dbb, v15
	v_fmac_f32_e32 v13, 0x3f441b7d, v10
	v_fmac_f32_e32 v40, 0x3f441b7d, v11
	;; [unrolled: 1-line block ×6, first 2 shown]
	v_fma_f32 v21, -2.0, v7, v0
	v_fma_f32 v22, 2.0, v6, v1
	v_fmac_f32_e32 v3, 0xbf5db3d7, v8
	v_fmac_f32_e32 v2, 0xbf5db3d7, v9
	v_fmac_f32_e32 v13, -0.5, v36
	v_fmac_f32_e32 v40, -0.5, v38
	v_add_f32_e32 v6, v14, v27
	v_add_f32_e32 v7, v15, v28
	;; [unrolled: 1-line block ×4, first 2 shown]
	v_fmac_f32_e32 v13, 0xbf708fb2, v25
	v_fmac_f32_e32 v40, 0xbf708fb2, v26
	;; [unrolled: 1-line block ×4, first 2 shown]
	v_sub_f32_e32 v6, v6, v29
	v_sub_f32_e32 v7, v7, v30
	v_fmac_f32_e32 v4, -0.5, v8
	v_fmac_f32_e32 v5, -0.5, v9
	v_add_f32_e32 v0, v13, v2
	v_sub_f32_e32 v1, v40, v3
	v_fmac_f32_e32 v4, 0x3f5db3d7, v7
	v_fmac_f32_e32 v5, 0xbf5db3d7, v6
	v_fma_f32 v2, -2.0, v2, v0
	v_fma_f32 v3, 2.0, v3, v1
	ds_write2_b64 v41, v[0:1], v[4:5] offset0:2 offset1:3
	v_mul_f32_e32 v1, 0x3f5db3d7, v6
	v_mul_f32_e32 v0, 0x3f5db3d7, v7
	v_fma_f32 v0, -2.0, v0, v4
	v_fma_f32 v1, 2.0, v1, v5
	ds_write2_b64 v41, v[0:1], v[2:3] offset0:6 offset1:7
	ds_write_b64 v41, v[21:22] offset:64
	s_waitcnt lgkmcnt(0)
	s_barrier
	v_lshl_add_u32 v36, v20, 3, v31
	ds_read_b64 v[29:30], v32
	ds_read_b64 v[27:28], v36
	ds_read2_b64 v[12:15], v34 offset0:27 offset1:39
	ds_read2_b64 v[8:11], v34 offset0:54 offset1:66
	;; [unrolled: 1-line block ×3, first 2 shown]
	v_cmp_gt_u16_e64 s[0:1], 3, v17
	v_lshlrev_b32_e32 v37, 3, v19
                                        ; implicit-def: $vgpr26
                                        ; implicit-def: $vgpr3
	s_and_saveexec_b64 s[2:3], s[0:1]
	s_cbranch_execz .LBB0_6
; %bb.5:
	v_add3_u32 v21, 0, v37, v35
	ds_read2_b64 v[0:3], v34 offset0:51 offset1:78
	ds_read_b64 v[21:22], v21
	ds_read_b64 v[25:26], v34 offset:840
.LBB0_6:
	s_or_b64 exec, exec, s[2:3]
	v_add_u32_e32 v23, -9, v16
	v_cmp_gt_u16_e64 s[2:3], 9, v17
	v_cndmask_b32_e64 v51, v23, v16, s[2:3]
	v_mul_i32_i24_e32 v23, 3, v51
	v_mov_b32_e32 v24, 0
	v_lshlrev_b64 v[38:39], 3, v[23:24]
	v_mov_b32_e32 v23, s9
	v_add_co_u32_e64 v43, s[2:3], s8, v38
	v_addc_co_u32_e64 v44, s[2:3], v23, v39, s[2:3]
	v_mov_b32_e32 v38, 57
	global_load_dwordx4 v[39:42], v[43:44], off
	global_load_dwordx2 v[47:48], v[43:44], off offset:16
	v_mul_lo_u16_sdwa v43, v20, v38 dst_sel:DWORD dst_unused:UNUSED_PAD src0_sel:BYTE_0 src1_sel:DWORD
	v_lshrrev_b16_e32 v52, 9, v43
	v_mul_lo_u16_e32 v43, 9, v52
	v_mov_b32_e32 v23, 3
	v_sub_u16_e32 v53, v20, v43
	v_mul_u32_u24_sdwa v43, v53, v23 dst_sel:DWORD dst_unused:UNUSED_PAD src0_sel:BYTE_0 src1_sel:DWORD
	v_lshlrev_b32_e32 v54, 3, v43
	global_load_dwordx4 v[43:46], v54, s[8:9]
	global_load_dwordx2 v[49:50], v54, s[8:9] offset:16
	v_mov_b32_e32 v54, 0x120
	v_cmp_lt_u16_e64 s[2:3], 8, v17
	v_cndmask_b32_e64 v54, 0, v54, s[2:3]
	v_add_u32_e32 v54, 0, v54
	v_lshlrev_b32_e32 v51, 3, v51
	v_add3_u32 v51, v54, v51, v35
	s_movk_i32 s10, 0x120
	v_mad_u32_u24 v52, v52, s10, 0
	v_lshlrev_b32_sdwa v53, v23, v53 dst_sel:DWORD dst_unused:UNUSED_PAD src0_sel:DWORD src1_sel:BYTE_0
	s_waitcnt vmcnt(0) lgkmcnt(0)
	s_barrier
	v_mul_f32_e32 v54, v40, v13
	v_mul_f32_e32 v40, v40, v12
	;; [unrolled: 1-line block ×6, first 2 shown]
	v_fma_f32 v12, v39, v12, -v54
	v_fmac_f32_e32 v40, v39, v13
	v_fma_f32 v8, v41, v8, -v55
	v_fmac_f32_e32 v42, v41, v9
	;; [unrolled: 2-line block ×3, first 2 shown]
	v_mul_f32_e32 v5, v44, v15
	v_mul_f32_e32 v13, v44, v14
	;; [unrolled: 1-line block ×6, first 2 shown]
	v_fma_f32 v14, v43, v14, -v5
	v_fmac_f32_e32 v13, v43, v15
	v_fma_f32 v9, v45, v10, -v9
	v_fmac_f32_e32 v39, v45, v11
	;; [unrolled: 2-line block ×3, first 2 shown]
	v_sub_f32_e32 v8, v29, v8
	v_sub_f32_e32 v10, v30, v42
	;; [unrolled: 1-line block ×4, first 2 shown]
	v_fma_f32 v15, v29, 2.0, -v8
	v_fma_f32 v29, v30, 2.0, -v10
	;; [unrolled: 1-line block ×4, first 2 shown]
	v_sub_f32_e32 v30, v27, v9
	v_sub_f32_e32 v39, v28, v39
	;; [unrolled: 1-line block ×4, first 2 shown]
	v_add_f32_e32 v5, v10, v5
	v_sub_f32_e32 v6, v15, v7
	v_fma_f32 v41, v27, 2.0, -v30
	v_fma_f32 v42, v28, 2.0, -v39
	;; [unrolled: 1-line block ×4, first 2 shown]
	v_sub_f32_e32 v4, v8, v4
	v_sub_f32_e32 v7, v29, v11
	v_fma_f32 v9, v10, 2.0, -v5
	v_sub_f32_e32 v10, v30, v40
	v_add_f32_e32 v11, v39, v12
	v_fma_f32 v12, v15, 2.0, -v6
	v_sub_f32_e32 v14, v41, v14
	v_sub_f32_e32 v15, v42, v27
	v_fma_f32 v8, v8, 2.0, -v4
	v_fma_f32 v13, v29, 2.0, -v7
	;; [unrolled: 1-line block ×4, first 2 shown]
	ds_write2_b64 v51, v[6:7], v[4:5] offset0:18 offset1:27
	v_fma_f32 v4, v41, 2.0, -v14
	v_fma_f32 v5, v42, 2.0, -v15
	v_add3_u32 v6, v52, v53, v35
	ds_write2_b64 v51, v[12:13], v[8:9] offset1:9
	ds_write2_b64 v6, v[4:5], v[27:28] offset1:9
	ds_write2_b64 v6, v[14:15], v[10:11] offset0:18 offset1:27
	s_and_saveexec_b64 s[2:3], s[0:1]
	s_cbranch_execz .LBB0_8
; %bb.7:
	v_mul_lo_u16_sdwa v4, v19, v38 dst_sel:DWORD dst_unused:UNUSED_PAD src0_sel:BYTE_0 src1_sel:DWORD
	v_lshrrev_b16_e32 v4, 9, v4
	v_mul_lo_u16_e32 v4, 9, v4
	v_sub_u16_e32 v10, v19, v4
	v_mul_u32_u24_sdwa v4, v10, v23 dst_sel:DWORD dst_unused:UNUSED_PAD src0_sel:BYTE_0 src1_sel:DWORD
	v_lshlrev_b32_e32 v11, 3, v4
	global_load_dwordx4 v[4:7], v11, s[8:9]
	global_load_dwordx2 v[8:9], v11, s[8:9] offset:16
	v_lshlrev_b32_sdwa v10, v23, v10 dst_sel:DWORD dst_unused:UNUSED_PAD src0_sel:DWORD src1_sel:BYTE_0
	v_add3_u32 v10, 0, v10, v35
	s_waitcnt vmcnt(1)
	v_mul_f32_e32 v11, v2, v7
	v_mul_f32_e32 v12, v1, v5
	s_waitcnt vmcnt(0)
	v_mul_f32_e32 v13, v26, v9
	v_mul_f32_e32 v7, v3, v7
	v_mul_f32_e32 v5, v0, v5
	v_mul_f32_e32 v9, v25, v9
	v_fmac_f32_e32 v11, v3, v6
	v_fma_f32 v3, v0, v4, -v12
	v_fma_f32 v0, v25, v8, -v13
	;; [unrolled: 1-line block ×3, first 2 shown]
	v_fmac_f32_e32 v5, v1, v4
	v_fmac_f32_e32 v9, v26, v8
	v_sub_f32_e32 v4, v22, v11
	v_sub_f32_e32 v6, v3, v0
	;; [unrolled: 1-line block ×4, first 2 shown]
	v_add_f32_e32 v1, v4, v6
	v_fma_f32 v8, v22, 2.0, -v4
	v_fma_f32 v5, v5, 2.0, -v7
	;; [unrolled: 1-line block ×4, first 2 shown]
	v_sub_f32_e32 v0, v2, v7
	v_fma_f32 v3, v4, 2.0, -v1
	v_sub_f32_e32 v5, v8, v5
	v_sub_f32_e32 v4, v9, v6
	v_fma_f32 v2, v2, 2.0, -v0
	v_fma_f32 v7, v8, 2.0, -v5
	;; [unrolled: 1-line block ×3, first 2 shown]
	ds_write2_b64 v10, v[6:7], v[2:3] offset0:72 offset1:81
	ds_write2_b64 v10, v[4:5], v[0:1] offset0:90 offset1:99
.LBB0_8:
	s_or_b64 exec, exec, s[2:3]
	v_lshlrev_b32_e32 v23, 1, v16
	v_lshlrev_b64 v[0:1], 3, v[23:24]
	v_lshlrev_b32_e32 v23, 1, v20
	v_mov_b32_e32 v10, s9
	v_add_co_u32_e64 v0, s[0:1], s8, v0
	v_lshlrev_b64 v[4:5], 3, v[23:24]
	v_addc_co_u32_e64 v1, s[0:1], v10, v1, s[0:1]
	v_lshlrev_b32_e32 v23, 1, v19
	v_add_co_u32_e64 v4, s[0:1], s8, v4
	v_lshlrev_b64 v[8:9], 3, v[23:24]
	v_addc_co_u32_e64 v5, s[0:1], v10, v5, s[0:1]
	s_waitcnt lgkmcnt(0)
	s_barrier
	global_load_dwordx4 v[0:3], v[0:1], off offset:216
	v_add_co_u32_e64 v8, s[0:1], s8, v8
	global_load_dwordx4 v[4:7], v[4:5], off offset:216
	v_addc_co_u32_e64 v9, s[0:1], v10, v9, s[0:1]
	global_load_dwordx4 v[8:11], v[8:9], off offset:216
	ds_read2_b64 v[12:15], v34 offset0:36 offset1:48
	ds_read2_b64 v[21:24], v34 offset0:60 offset1:72
	;; [unrolled: 1-line block ×3, first 2 shown]
	v_add3_u32 v35, 0, v37, v35
	ds_read_b64 v[29:30], v32
	ds_read_b64 v[37:38], v36
	;; [unrolled: 1-line block ×3, first 2 shown]
	s_waitcnt vmcnt(0) lgkmcnt(0)
	s_barrier
	v_cmp_ne_u16_e64 s[0:1], 0, v17
	v_mul_f32_e32 v41, v1, v13
	v_mul_f32_e32 v1, v1, v12
	v_mul_f32_e32 v42, v3, v24
	v_mul_f32_e32 v3, v3, v23
	v_fma_f32 v12, v0, v12, -v41
	v_fmac_f32_e32 v1, v0, v13
	v_fma_f32 v0, v2, v23, -v42
	v_fmac_f32_e32 v3, v2, v24
	v_mul_f32_e32 v2, v5, v15
	v_mul_f32_e32 v5, v5, v14
	v_mul_f32_e32 v13, v7, v26
	v_mul_f32_e32 v7, v7, v25
	v_fma_f32 v2, v4, v14, -v2
	v_fmac_f32_e32 v5, v4, v15
	v_fma_f32 v4, v6, v25, -v13
	v_fmac_f32_e32 v7, v6, v26
	v_mul_f32_e32 v6, v9, v22
	v_mul_f32_e32 v13, v9, v21
	;; [unrolled: 1-line block ×4, first 2 shown]
	v_add_f32_e32 v14, v29, v12
	v_fma_f32 v21, v8, v21, -v6
	v_fmac_f32_e32 v13, v8, v22
	v_fma_f32 v22, v27, v10, -v9
	v_fmac_f32_e32 v11, v28, v10
	v_add_f32_e32 v8, v2, v4
	v_add_f32_e32 v10, v38, v5
	;; [unrolled: 1-line block ×3, first 2 shown]
	v_sub_f32_e32 v12, v12, v0
	v_add_f32_e32 v0, v14, v0
	v_add_f32_e32 v6, v37, v2
	v_sub_f32_e32 v9, v5, v7
	v_add_f32_e32 v14, v5, v7
	v_fma_f32 v37, -0.5, v8, v37
	v_add_f32_e32 v5, v10, v7
	v_add_f32_e32 v10, v21, v22
	v_fma_f32 v29, -0.5, v15, v29
	v_sub_f32_e32 v15, v2, v4
	v_add_f32_e32 v4, v6, v4
	v_add_f32_e32 v8, v39, v21
	v_mov_b32_e32 v6, v37
	v_fma_f32 v39, -0.5, v10, v39
	v_fmac_f32_e32 v37, 0xbf5db3d7, v9
	v_fmac_f32_e32 v6, 0x3f5db3d7, v9
	v_sub_f32_e32 v9, v13, v11
	v_mov_b32_e32 v10, v39
	v_add_f32_e32 v25, v1, v3
	v_fmac_f32_e32 v10, 0x3f5db3d7, v9
	v_fmac_f32_e32 v39, 0xbf5db3d7, v9
	v_add_f32_e32 v9, v40, v13
	v_add_f32_e32 v24, v30, v1
	v_fmac_f32_e32 v30, -0.5, v25
	v_add_f32_e32 v9, v9, v11
	v_add_f32_e32 v11, v13, v11
	v_sub_f32_e32 v23, v1, v3
	v_add_f32_e32 v1, v24, v3
	v_mov_b32_e32 v2, v29
	v_mov_b32_e32 v3, v30
	v_fmac_f32_e32 v38, -0.5, v14
	v_fmac_f32_e32 v40, -0.5, v11
	v_fmac_f32_e32 v30, 0x3f5db3d7, v12
	v_fmac_f32_e32 v2, 0x3f5db3d7, v23
	;; [unrolled: 1-line block ×3, first 2 shown]
	v_mov_b32_e32 v7, v38
	v_sub_f32_e32 v12, v21, v22
	v_mov_b32_e32 v11, v40
	v_fmac_f32_e32 v29, 0xbf5db3d7, v23
	v_fmac_f32_e32 v38, 0x3f5db3d7, v15
	v_add_f32_e32 v8, v8, v22
	v_fmac_f32_e32 v7, 0xbf5db3d7, v15
	v_fmac_f32_e32 v11, 0xbf5db3d7, v12
	;; [unrolled: 1-line block ×3, first 2 shown]
	ds_write2_b64 v34, v[0:1], v[2:3] offset1:36
	ds_write_b64 v34, v[29:30] offset:576
	ds_write2_b64 v36, v[4:5], v[6:7] offset1:36
	ds_write_b64 v36, v[37:38] offset:576
	;; [unrolled: 2-line block ×3, first 2 shown]
	s_waitcnt lgkmcnt(0)
	s_barrier
	ds_read_b64 v[2:3], v32
	v_sub_u32_e32 v4, v31, v33
                                        ; implicit-def: $vgpr1
                                        ; implicit-def: $vgpr5
	s_and_saveexec_b64 s[2:3], s[0:1]
	s_xor_b64 s[0:1], exec, s[2:3]
	s_cbranch_execz .LBB0_10
; %bb.9:
	v_mov_b32_e32 v0, 3
	v_lshlrev_b32_sdwa v0, v0, v17 dst_sel:DWORD dst_unused:UNUSED_PAD src0_sel:DWORD src1_sel:WORD_0
	global_load_dwordx2 v[6:7], v0, s[8:9] offset:792
	ds_read_b64 v[0:1], v4 offset:864
	s_waitcnt lgkmcnt(0)
	v_add_f32_e32 v8, v0, v2
	v_sub_f32_e32 v0, v2, v0
	v_add_f32_e32 v5, v1, v3
	v_sub_f32_e32 v1, v3, v1
	v_mul_f32_e32 v3, 0.5, v0
	v_mul_f32_e32 v0, 0.5, v1
	;; [unrolled: 1-line block ×3, first 2 shown]
	s_waitcnt vmcnt(0)
	v_mul_f32_e32 v1, v7, v3
	v_fma_f32 v9, 0.5, v8, v1
	v_fma_f32 v5, v2, v7, v0
	v_fma_f32 v7, v2, v7, -v0
	v_fma_f32 v0, v8, 0.5, -v1
	v_fmac_f32_e32 v9, v6, v2
	v_fma_f32 v5, -v6, v3, v5
	v_fma_f32 v0, -v6, v2, v0
	ds_write_b32 v32, v9
	v_fma_f32 v1, -v6, v3, v7
                                        ; implicit-def: $vgpr2_vgpr3
.LBB0_10:
	s_andn2_saveexec_b64 s[0:1], s[0:1]
	s_cbranch_execz .LBB0_12
; %bb.11:
	ds_read_b32 v1, v31 offset:436
	v_mov_b32_e32 v5, 0
	s_waitcnt lgkmcnt(1)
	v_add_f32_e32 v6, v2, v3
	v_sub_f32_e32 v0, v2, v3
	ds_write_b32 v32, v6
	s_waitcnt lgkmcnt(1)
	v_xor_b32_e32 v1, 0x80000000, v1
	ds_write_b32 v31, v1 offset:436
	v_mov_b32_e32 v1, v5
.LBB0_12:
	s_or_b64 exec, exec, s[0:1]
	v_mov_b32_e32 v21, 0
	s_waitcnt lgkmcnt(0)
	v_lshlrev_b64 v[2:3], 3, v[20:21]
	v_mov_b32_e32 v6, s9
	v_add_co_u32_e64 v2, s[0:1], s8, v2
	v_addc_co_u32_e64 v3, s[0:1], v6, v3, s[0:1]
	global_load_dwordx2 v[6:7], v[2:3], off offset:792
	v_mov_b32_e32 v20, v21
	v_lshlrev_b64 v[2:3], 3, v[19:20]
	v_mov_b32_e32 v8, s9
	v_add_co_u32_e64 v2, s[0:1], s8, v2
	v_addc_co_u32_e64 v3, s[0:1], v8, v3, s[0:1]
	global_load_dwordx2 v[8:9], v[2:3], off offset:792
	v_mov_b32_e32 v17, v21
	s_add_u32 s0, s8, 0x318
	v_lshlrev_b64 v[2:3], 3, v[16:17]
	s_addc_u32 s1, s9, 0
	v_mov_b32_e32 v10, s1
	v_add_co_u32_e64 v2, s[0:1], s0, v2
	v_addc_co_u32_e64 v3, s[0:1], v10, v3, s[0:1]
	global_load_dwordx2 v[10:11], v[2:3], off offset:288
	ds_write_b32 v32, v5 offset:4
	ds_write_b64 v4, v[0:1] offset:864
	ds_read_b64 v[0:1], v36
	ds_read_b64 v[12:13], v4 offset:768
	v_lshl_add_u32 v14, v19, 3, v31
	s_waitcnt lgkmcnt(0)
	v_add_f32_e32 v5, v0, v12
	v_sub_f32_e32 v0, v0, v12
	v_add_f32_e32 v15, v1, v13
	v_sub_f32_e32 v1, v1, v13
	v_mul_f32_e32 v13, 0.5, v0
	v_mul_f32_e32 v12, 0.5, v15
	;; [unrolled: 1-line block ×3, first 2 shown]
	s_waitcnt vmcnt(2)
	v_mul_f32_e32 v15, v7, v13
	v_fma_f32 v1, v12, v7, v0
	v_fma_f32 v7, v12, v7, -v0
	v_fma_f32 v0, 0.5, v5, v15
	v_fma_f32 v1, -v6, v13, v1
	v_fma_f32 v5, v5, 0.5, -v15
	v_fmac_f32_e32 v0, v6, v12
	v_fma_f32 v7, -v6, v13, v7
	v_fma_f32 v6, -v6, v12, v5
	ds_write_b64 v36, v[0:1]
	ds_write_b64 v4, v[6:7] offset:768
	ds_read_b64 v[0:1], v14
	ds_read_b64 v[5:6], v4 offset:672
	s_waitcnt lgkmcnt(0)
	v_add_f32_e32 v7, v0, v5
	v_sub_f32_e32 v0, v0, v5
	v_add_f32_e32 v12, v1, v6
	v_sub_f32_e32 v1, v1, v6
	v_mul_f32_e32 v6, 0.5, v0
	v_mul_f32_e32 v5, 0.5, v12
	;; [unrolled: 1-line block ×3, first 2 shown]
	s_waitcnt vmcnt(1)
	v_mul_f32_e32 v12, v9, v6
	v_fma_f32 v1, v5, v9, v0
	v_fma_f32 v9, v5, v9, -v0
	v_fma_f32 v0, 0.5, v7, v12
	v_fma_f32 v1, -v8, v6, v1
	v_fma_f32 v7, v7, 0.5, -v12
	v_fmac_f32_e32 v0, v8, v5
	v_fma_f32 v6, -v8, v6, v9
	v_fma_f32 v5, -v8, v5, v7
	ds_write_b64 v14, v[0:1]
	ds_write_b64 v4, v[5:6] offset:672
	ds_read_b64 v[0:1], v32 offset:288
	ds_read_b64 v[5:6], v4 offset:576
	v_or_b32_e32 v7, 48, v16
	v_cmp_gt_u32_e64 s[0:1], 54, v7
	s_waitcnt lgkmcnt(0)
	v_add_f32_e32 v8, v0, v5
	v_sub_f32_e32 v0, v0, v5
	v_add_f32_e32 v9, v1, v6
	v_sub_f32_e32 v1, v1, v6
	v_mul_f32_e32 v6, 0.5, v0
	v_mul_f32_e32 v5, 0.5, v9
	;; [unrolled: 1-line block ×3, first 2 shown]
	s_waitcnt vmcnt(0)
	v_mul_f32_e32 v9, v11, v6
	v_fma_f32 v1, v5, v11, v0
	v_fma_f32 v11, v5, v11, -v0
	v_fma_f32 v0, 0.5, v8, v9
	v_fma_f32 v1, -v10, v6, v1
	v_fma_f32 v8, v8, 0.5, -v9
	v_fmac_f32_e32 v0, v10, v5
	v_fma_f32 v6, -v10, v6, v11
	v_fma_f32 v5, -v10, v5, v8
	ds_write_b64 v32, v[0:1] offset:288
	ds_write_b64 v4, v[5:6] offset:576
	s_and_saveexec_b64 s[2:3], s[0:1]
	s_cbranch_execz .LBB0_14
; %bb.13:
	global_load_dwordx2 v[0:1], v[2:3], off offset:384
	ds_read_b64 v[2:3], v32 offset:384
	ds_read_b64 v[5:6], v4 offset:480
	s_waitcnt lgkmcnt(0)
	v_add_f32_e32 v7, v2, v5
	v_sub_f32_e32 v2, v2, v5
	v_add_f32_e32 v8, v3, v6
	v_sub_f32_e32 v3, v3, v6
	v_mul_f32_e32 v6, 0.5, v2
	v_mul_f32_e32 v5, 0.5, v8
	;; [unrolled: 1-line block ×3, first 2 shown]
	s_waitcnt vmcnt(0)
	v_mul_f32_e32 v3, v1, v6
	v_fma_f32 v8, v5, v1, v2
	v_fma_f32 v9, v5, v1, -v2
	v_fma_f32 v1, 0.5, v7, v3
	v_fma_f32 v2, -v0, v6, v8
	v_fma_f32 v3, v7, 0.5, -v3
	v_fmac_f32_e32 v1, v0, v5
	v_fma_f32 v6, -v0, v6, v9
	v_fma_f32 v5, -v0, v5, v3
	ds_write_b64 v32, v[1:2] offset:384
	ds_write_b64 v4, v[5:6] offset:480
.LBB0_14:
	s_or_b64 exec, exec, s[2:3]
	s_waitcnt lgkmcnt(0)
	s_barrier
	s_and_saveexec_b64 s[0:1], vcc
	s_cbranch_execz .LBB0_17
; %bb.15:
	v_mad_u64_u32 v[0:1], s[0:1], s6, v18, 0
	s_load_dwordx2 s[0:1], s[4:5], 0x58
	v_mov_b32_e32 v17, 0
	v_mad_u64_u32 v[1:2], s[2:3], s7, v18, v[1:2]
	v_lshl_add_u32 v2, v16, 3, v31
	ds_read2_b64 v[3:6], v2 offset1:12
	v_lshlrev_b64 v[0:1], 3, v[0:1]
	s_waitcnt lgkmcnt(0)
	v_mov_b32_e32 v7, s1
	v_add_co_u32_e32 v0, vcc, s0, v0
	v_addc_co_u32_e32 v1, vcc, v7, v1, vcc
	v_lshlrev_b64 v[7:8], 3, v[16:17]
	v_add_co_u32_e32 v7, vcc, v0, v7
	v_addc_co_u32_e32 v8, vcc, v1, v8, vcc
	global_store_dwordx2 v[7:8], v[3:4], off
	v_add_u32_e32 v3, 12, v16
	v_mov_b32_e32 v4, v17
	v_lshlrev_b64 v[3:4], 3, v[3:4]
	v_add_u32_e32 v7, 24, v16
	v_add_co_u32_e32 v3, vcc, v0, v3
	v_addc_co_u32_e32 v4, vcc, v1, v4, vcc
	global_store_dwordx2 v[3:4], v[5:6], off
	v_mov_b32_e32 v8, v17
	ds_read2_b64 v[3:6], v2 offset0:24 offset1:36
	v_lshlrev_b64 v[7:8], 3, v[7:8]
	v_add_co_u32_e32 v7, vcc, v0, v7
	v_addc_co_u32_e32 v8, vcc, v1, v8, vcc
	s_waitcnt lgkmcnt(0)
	global_store_dwordx2 v[7:8], v[3:4], off
	v_add_u32_e32 v3, 36, v16
	v_mov_b32_e32 v4, v17
	v_lshlrev_b64 v[3:4], 3, v[3:4]
	v_add_u32_e32 v7, 48, v16
	v_add_co_u32_e32 v3, vcc, v0, v3
	v_addc_co_u32_e32 v4, vcc, v1, v4, vcc
	global_store_dwordx2 v[3:4], v[5:6], off
	v_mov_b32_e32 v8, v17
	ds_read2_b64 v[3:6], v2 offset0:48 offset1:60
	v_lshlrev_b64 v[7:8], 3, v[7:8]
	v_add_co_u32_e32 v7, vcc, v0, v7
	v_addc_co_u32_e32 v8, vcc, v1, v8, vcc
	s_waitcnt lgkmcnt(0)
	;; [unrolled: 14-line block ×3, first 2 shown]
	global_store_dwordx2 v[7:8], v[3:4], off
	v_add_u32_e32 v3, 0x54, v16
	v_mov_b32_e32 v4, v17
	v_lshlrev_b64 v[3:4], 3, v[3:4]
	v_add_co_u32_e32 v3, vcc, v0, v3
	v_addc_co_u32_e32 v4, vcc, v1, v4, vcc
	global_store_dwordx2 v[3:4], v[5:6], off
	v_add_u32_e32 v3, 0x60, v16
	v_mov_b32_e32 v4, v17
	ds_read_b64 v[5:6], v2 offset:768
	v_lshlrev_b64 v[3:4], 3, v[3:4]
	v_add_co_u32_e32 v3, vcc, v0, v3
	v_addc_co_u32_e32 v4, vcc, v1, v4, vcc
	v_cmp_eq_u32_e32 vcc, 11, v16
	s_waitcnt lgkmcnt(0)
	global_store_dwordx2 v[3:4], v[5:6], off
	s_and_b64 exec, exec, vcc
	s_cbranch_execz .LBB0_17
; %bb.16:
	ds_read_b64 v[2:3], v2 offset:776
	s_waitcnt lgkmcnt(0)
	global_store_dwordx2 v[0:1], v[2:3], off offset:864
.LBB0_17:
	s_endpgm
	.section	.rodata,"a",@progbits
	.p2align	6, 0x0
	.amdhsa_kernel fft_rtc_fwd_len108_factors_9_4_3_wgs_192_tpt_12_halfLds_dim1_sp_op_CI_CI_unitstride_sbrr_R2C_dirReg
		.amdhsa_group_segment_fixed_size 0
		.amdhsa_private_segment_fixed_size 0
		.amdhsa_kernarg_size 96
		.amdhsa_user_sgpr_count 6
		.amdhsa_user_sgpr_private_segment_buffer 1
		.amdhsa_user_sgpr_dispatch_ptr 0
		.amdhsa_user_sgpr_queue_ptr 0
		.amdhsa_user_sgpr_kernarg_segment_ptr 1
		.amdhsa_user_sgpr_dispatch_id 0
		.amdhsa_user_sgpr_flat_scratch_init 0
		.amdhsa_user_sgpr_private_segment_size 0
		.amdhsa_uses_dynamic_stack 0
		.amdhsa_system_sgpr_private_segment_wavefront_offset 0
		.amdhsa_system_sgpr_workgroup_id_x 1
		.amdhsa_system_sgpr_workgroup_id_y 0
		.amdhsa_system_sgpr_workgroup_id_z 0
		.amdhsa_system_sgpr_workgroup_info 0
		.amdhsa_system_vgpr_workitem_id 0
		.amdhsa_next_free_vgpr 57
		.amdhsa_next_free_sgpr 14
		.amdhsa_reserve_vcc 1
		.amdhsa_reserve_flat_scratch 0
		.amdhsa_float_round_mode_32 0
		.amdhsa_float_round_mode_16_64 0
		.amdhsa_float_denorm_mode_32 3
		.amdhsa_float_denorm_mode_16_64 3
		.amdhsa_dx10_clamp 1
		.amdhsa_ieee_mode 1
		.amdhsa_fp16_overflow 0
		.amdhsa_exception_fp_ieee_invalid_op 0
		.amdhsa_exception_fp_denorm_src 0
		.amdhsa_exception_fp_ieee_div_zero 0
		.amdhsa_exception_fp_ieee_overflow 0
		.amdhsa_exception_fp_ieee_underflow 0
		.amdhsa_exception_fp_ieee_inexact 0
		.amdhsa_exception_int_div_zero 0
	.end_amdhsa_kernel
	.text
.Lfunc_end0:
	.size	fft_rtc_fwd_len108_factors_9_4_3_wgs_192_tpt_12_halfLds_dim1_sp_op_CI_CI_unitstride_sbrr_R2C_dirReg, .Lfunc_end0-fft_rtc_fwd_len108_factors_9_4_3_wgs_192_tpt_12_halfLds_dim1_sp_op_CI_CI_unitstride_sbrr_R2C_dirReg
                                        ; -- End function
	.section	.AMDGPU.csdata,"",@progbits
; Kernel info:
; codeLenInByte = 4144
; NumSgprs: 18
; NumVgprs: 57
; ScratchSize: 0
; MemoryBound: 0
; FloatMode: 240
; IeeeMode: 1
; LDSByteSize: 0 bytes/workgroup (compile time only)
; SGPRBlocks: 2
; VGPRBlocks: 14
; NumSGPRsForWavesPerEU: 18
; NumVGPRsForWavesPerEU: 57
; Occupancy: 4
; WaveLimiterHint : 1
; COMPUTE_PGM_RSRC2:SCRATCH_EN: 0
; COMPUTE_PGM_RSRC2:USER_SGPR: 6
; COMPUTE_PGM_RSRC2:TRAP_HANDLER: 0
; COMPUTE_PGM_RSRC2:TGID_X_EN: 1
; COMPUTE_PGM_RSRC2:TGID_Y_EN: 0
; COMPUTE_PGM_RSRC2:TGID_Z_EN: 0
; COMPUTE_PGM_RSRC2:TIDIG_COMP_CNT: 0
	.type	__hip_cuid_d0845599400d037d,@object ; @__hip_cuid_d0845599400d037d
	.section	.bss,"aw",@nobits
	.globl	__hip_cuid_d0845599400d037d
__hip_cuid_d0845599400d037d:
	.byte	0                               ; 0x0
	.size	__hip_cuid_d0845599400d037d, 1

	.ident	"AMD clang version 19.0.0git (https://github.com/RadeonOpenCompute/llvm-project roc-6.4.0 25133 c7fe45cf4b819c5991fe208aaa96edf142730f1d)"
	.section	".note.GNU-stack","",@progbits
	.addrsig
	.addrsig_sym __hip_cuid_d0845599400d037d
	.amdgpu_metadata
---
amdhsa.kernels:
  - .args:
      - .actual_access:  read_only
        .address_space:  global
        .offset:         0
        .size:           8
        .value_kind:     global_buffer
      - .actual_access:  read_only
        .address_space:  global
        .offset:         8
        .size:           8
        .value_kind:     global_buffer
      - .actual_access:  read_only
        .address_space:  global
        .offset:         16
        .size:           8
        .value_kind:     global_buffer
      - .actual_access:  read_only
        .address_space:  global
        .offset:         24
        .size:           8
        .value_kind:     global_buffer
      - .offset:         32
        .size:           8
        .value_kind:     by_value
      - .actual_access:  read_only
        .address_space:  global
        .offset:         40
        .size:           8
        .value_kind:     global_buffer
      - .actual_access:  read_only
        .address_space:  global
        .offset:         48
        .size:           8
        .value_kind:     global_buffer
      - .offset:         56
        .size:           4
        .value_kind:     by_value
      - .actual_access:  read_only
        .address_space:  global
        .offset:         64
        .size:           8
        .value_kind:     global_buffer
      - .actual_access:  read_only
        .address_space:  global
        .offset:         72
        .size:           8
        .value_kind:     global_buffer
      - .actual_access:  read_only
        .address_space:  global
        .offset:         80
        .size:           8
        .value_kind:     global_buffer
      - .actual_access:  write_only
        .address_space:  global
        .offset:         88
        .size:           8
        .value_kind:     global_buffer
    .group_segment_fixed_size: 0
    .kernarg_segment_align: 8
    .kernarg_segment_size: 96
    .language:       OpenCL C
    .language_version:
      - 2
      - 0
    .max_flat_workgroup_size: 192
    .name:           fft_rtc_fwd_len108_factors_9_4_3_wgs_192_tpt_12_halfLds_dim1_sp_op_CI_CI_unitstride_sbrr_R2C_dirReg
    .private_segment_fixed_size: 0
    .sgpr_count:     18
    .sgpr_spill_count: 0
    .symbol:         fft_rtc_fwd_len108_factors_9_4_3_wgs_192_tpt_12_halfLds_dim1_sp_op_CI_CI_unitstride_sbrr_R2C_dirReg.kd
    .uniform_work_group_size: 1
    .uses_dynamic_stack: false
    .vgpr_count:     57
    .vgpr_spill_count: 0
    .wavefront_size: 64
amdhsa.target:   amdgcn-amd-amdhsa--gfx906
amdhsa.version:
  - 1
  - 2
...

	.end_amdgpu_metadata
